;; amdgpu-corpus repo=ROCm/rocFFT kind=compiled arch=gfx1030 opt=O3
	.text
	.amdgcn_target "amdgcn-amd-amdhsa--gfx1030"
	.amdhsa_code_object_version 6
	.protected	fft_rtc_back_len192_factors_2_2_3_4_4_wgs_256_tpt_16_halfLds_dim3_sp_ip_CI_sbrr_dirReg ; -- Begin function fft_rtc_back_len192_factors_2_2_3_4_4_wgs_256_tpt_16_halfLds_dim3_sp_ip_CI_sbrr_dirReg
	.globl	fft_rtc_back_len192_factors_2_2_3_4_4_wgs_256_tpt_16_halfLds_dim3_sp_ip_CI_sbrr_dirReg
	.p2align	8
	.type	fft_rtc_back_len192_factors_2_2_3_4_4_wgs_256_tpt_16_halfLds_dim3_sp_ip_CI_sbrr_dirReg,@function
fft_rtc_back_len192_factors_2_2_3_4_4_wgs_256_tpt_16_halfLds_dim3_sp_ip_CI_sbrr_dirReg: ; @fft_rtc_back_len192_factors_2_2_3_4_4_wgs_256_tpt_16_halfLds_dim3_sp_ip_CI_sbrr_dirReg
; %bb.0:
	s_load_dwordx4 s[0:3], s[4:5], 0x8
	v_mov_b32_e32 v1, 0
	v_mov_b32_e32 v2, 0
	v_lshrrev_b32_e32 v43, 4, v0
	v_mov_b32_e32 v4, 0
	v_mov_b32_e32 v6, v2
	v_lshl_or_b32 v3, s6, 4, v43
	v_mov_b32_e32 v5, v1
	s_mov_b32 s6, exec_lo
	s_waitcnt lgkmcnt(0)
	s_load_dwordx2 s[8:9], s[0:1], 0x8
	s_waitcnt lgkmcnt(0)
	v_cmpx_le_u64_e64 s[8:9], v[3:4]
	s_cbranch_execz .LBB0_2
; %bb.1:
	v_cvt_f32_u32_e32 v5, s8
	s_sub_i32 s7, 0, s8
	v_rcp_iflag_f32_e32 v5, v5
	v_mul_f32_e32 v5, 0x4f7ffffe, v5
	v_cvt_u32_f32_e32 v5, v5
	v_mul_lo_u32 v6, s7, v5
	v_mul_hi_u32 v6, v5, v6
	v_add_nc_u32_e32 v5, v5, v6
	v_mul_hi_u32 v5, v3, v5
	v_mul_lo_u32 v6, v5, s8
	v_add_nc_u32_e32 v7, 1, v5
	v_sub_nc_u32_e32 v6, v3, v6
	v_subrev_nc_u32_e32 v8, s8, v6
	v_cmp_le_u32_e32 vcc_lo, s8, v6
	v_cndmask_b32_e32 v6, v6, v8, vcc_lo
	v_cndmask_b32_e32 v5, v5, v7, vcc_lo
	v_cmp_le_u32_e32 vcc_lo, s8, v6
	v_add_nc_u32_e32 v7, 1, v5
	v_mov_b32_e32 v6, v4
	v_cndmask_b32_e32 v5, v5, v7, vcc_lo
.LBB0_2:
	s_or_b32 exec_lo, exec_lo, s6
	s_load_dwordx2 s[6:7], s[0:1], 0x10
	s_load_dwordx2 s[0:1], s[2:3], 0x8
	s_mov_b32 s10, exec_lo
	s_waitcnt lgkmcnt(0)
	v_cmpx_le_u64_e64 s[6:7], v[5:6]
	s_cbranch_execz .LBB0_4
; %bb.3:
	v_cvt_f32_u32_e32 v1, s6
	s_sub_i32 s11, 0, s6
	v_rcp_iflag_f32_e32 v1, v1
	v_mul_f32_e32 v1, 0x4f7ffffe, v1
	v_cvt_u32_f32_e32 v1, v1
	v_mul_lo_u32 v2, s11, v1
	v_mul_hi_u32 v2, v1, v2
	v_add_nc_u32_e32 v1, v1, v2
	v_mul_hi_u32 v1, v5, v1
	v_mul_lo_u32 v2, v1, s6
	v_add_nc_u32_e32 v4, 1, v1
	v_sub_nc_u32_e32 v2, v5, v2
	v_subrev_nc_u32_e32 v7, s6, v2
	v_cmp_le_u32_e32 vcc_lo, s6, v2
	v_cndmask_b32_e32 v2, v2, v7, vcc_lo
	v_cndmask_b32_e32 v1, v1, v4, vcc_lo
	v_cmp_le_u32_e32 vcc_lo, s6, v2
	v_add_nc_u32_e32 v4, 1, v1
	v_mov_b32_e32 v2, 0
	v_cndmask_b32_e32 v1, v1, v4, vcc_lo
.LBB0_4:
	s_or_b32 exec_lo, exec_lo, s10
	v_mad_u64_u32 v[7:8], null, v5, s8, 0
	v_and_b32_e32 v31, 15, v0
                                        ; implicit-def: $vgpr40
                                        ; implicit-def: $vgpr41
                                        ; implicit-def: $vgpr42
                                        ; implicit-def: $vgpr45
                                        ; implicit-def: $vgpr44
	v_or_b32_e32 v30, 16, v31
	v_mov_b32_e32 v4, v8
	v_mad_u64_u32 v[8:9], null, v1, s6, 0
	v_sub_co_u32 v7, vcc_lo, v3, v7
	v_mad_u64_u32 v[10:11], null, v5, s9, v[4:5]
	s_load_dwordx4 s[8:11], s[2:3], 0x10
	v_mul_lo_u32 v11, s1, v7
	v_mov_b32_e32 v4, v9
	s_load_dwordx2 s[2:3], s[2:3], 0x0
	v_or_b32_e32 v28, 32, v31
	v_or_b32_e32 v33, 48, v31
	v_mov_b32_e32 v9, v10
	v_mad_u64_u32 v[3:4], null, v1, s7, v[4:5]
	v_or_b32_e32 v32, 64, v31
	v_or_b32_e32 v29, 0x50, v31
	v_sub_co_ci_u32_e32 v4, vcc_lo, 0, v9, vcc_lo
	v_mad_u64_u32 v[9:10], null, s0, v7, 0
	v_sub_co_u32 v5, vcc_lo, v5, v8
	v_mul_lo_u32 v4, s0, v4
	v_sub_co_ci_u32_e32 v3, vcc_lo, v6, v3, vcc_lo
	s_waitcnt lgkmcnt(0)
	v_mul_lo_u32 v6, s9, v5
	s_clause 0x2
	s_load_dwordx2 s[0:1], s[4:5], 0x18
	s_load_dwordx2 s[6:7], s[4:5], 0x48
	;; [unrolled: 1-line block ×3, first 2 shown]
	v_mul_lo_u32 v7, s8, v3
	v_add3_u32 v10, v10, v4, v11
	v_mad_u64_u32 v[3:4], null, s8, v5, v[9:10]
                                        ; implicit-def: $sgpr8_sgpr9
	v_add3_u32 v4, v6, v4, v7
	s_waitcnt lgkmcnt(0)
	v_cmp_gt_u64_e32 vcc_lo, s[0:1], v[1:2]
	v_cmp_le_u64_e64 s0, s[0:1], v[1:2]
	v_mad_u64_u32 v[3:4], null, s10, v1, v[3:4]
	v_mad_u64_u32 v[1:2], null, s11, v1, v[4:5]
	s_and_saveexec_b32 s1, s0
	s_xor_b32 s0, exec_lo, s1
; %bb.5:
	v_or_b32_e32 v40, 16, v31
	v_or_b32_e32 v41, 32, v31
	;; [unrolled: 1-line block ×5, first 2 shown]
	s_mov_b64 s[8:9], 0
; %bb.6:
	s_or_saveexec_b32 s1, s0
	v_mov_b32_e32 v4, v1
	v_mov_b32_e32 v1, s8
	;; [unrolled: 1-line block ×5, first 2 shown]
	v_lshlrev_b64 v[4:5], 3, v[3:4]
	v_mov_b32_e32 v15, s9
	v_mov_b32_e32 v13, s9
	;; [unrolled: 1-line block ×3, first 2 shown]
	v_or_b32_e32 v38, 0x60, v31
	v_or_b32_e32 v36, 0x70, v31
	;; [unrolled: 1-line block ×6, first 2 shown]
	v_mov_b32_e32 v7, s9
	v_mov_b32_e32 v16, s8
	;; [unrolled: 1-line block ×5, first 2 shown]
                                        ; implicit-def: $vgpr9
                                        ; implicit-def: $vgpr25
                                        ; implicit-def: $vgpr21
                                        ; implicit-def: $vgpr23
                                        ; implicit-def: $vgpr27
                                        ; implicit-def: $vgpr11
	s_xor_b32 exec_lo, exec_lo, s1
	s_cbranch_execz .LBB0_8
; %bb.7:
	v_mad_u64_u32 v[6:7], null, s2, v38, 0
	v_mad_u64_u32 v[1:2], null, s2, v31, 0
	;; [unrolled: 1-line block ×4, first 2 shown]
	v_mov_b32_e32 v3, v7
	v_add_co_u32 v48, s0, s6, v4
	v_add_co_ci_u32_e64 v49, s0, s7, v5, s0
	v_mad_u64_u32 v[12:13], null, s3, v31, v[2:3]
	v_mov_b32_e32 v2, v9
	v_mad_u64_u32 v[13:14], null, s3, v38, v[3:4]
	v_mov_b32_e32 v9, v11
	v_mad_u64_u32 v[18:19], null, s2, v33, 0
	v_mad_u64_u32 v[14:15], null, s3, v30, v[2:3]
	v_mov_b32_e32 v2, v12
	v_mov_b32_e32 v7, v13
	v_mad_u64_u32 v[11:12], null, s3, v36, v[9:10]
	v_mad_u64_u32 v[12:13], null, s2, v28, 0
	v_lshlrev_b64 v[1:2], 3, v[1:2]
	v_mov_b32_e32 v9, v14
	v_lshlrev_b64 v[6:7], 3, v[6:7]
	v_mad_u64_u32 v[14:15], null, s2, v34, 0
	v_lshlrev_b64 v[10:11], 3, v[10:11]
	v_add_co_u32 v1, s0, v48, v1
	v_lshlrev_b64 v[8:9], 3, v[8:9]
	v_add_co_ci_u32_e64 v2, s0, v49, v2, s0
	v_add_co_u32 v6, s0, v48, v6
	v_mov_b32_e32 v3, v13
	v_add_co_ci_u32_e64 v7, s0, v49, v7, s0
	v_add_co_u32 v16, s0, v48, v8
	v_add_co_ci_u32_e64 v17, s0, v49, v9, s0
	v_mad_u64_u32 v[8:9], null, s3, v28, v[3:4]
	v_mov_b32_e32 v3, v15
	v_add_co_u32 v10, s0, v48, v10
	v_add_co_ci_u32_e64 v11, s0, v49, v11, s0
	v_mad_u64_u32 v[20:21], null, s3, v34, v[3:4]
	v_mov_b32_e32 v3, v19
	v_mov_b32_e32 v13, v8
	s_clause 0x3
	global_load_dwordx2 v[1:2], v[1:2], off
	global_load_dwordx2 v[8:9], v[6:7], off
	;; [unrolled: 1-line block ×4, first 2 shown]
	v_mad_u64_u32 v[16:17], null, s2, v39, 0
	v_mad_u64_u32 v[21:22], null, s3, v33, v[3:4]
	v_mov_b32_e32 v15, v20
	v_lshlrev_b64 v[12:13], 3, v[12:13]
	v_mov_b32_e32 v3, v17
	v_lshlrev_b64 v[14:15], 3, v[14:15]
	v_mov_b32_e32 v19, v21
	v_mad_u64_u32 v[20:21], null, s2, v32, 0
	v_mad_u64_u32 v[22:23], null, s3, v39, v[3:4]
	;; [unrolled: 1-line block ×3, first 2 shown]
	v_add_co_u32 v12, s0, v48, v12
	v_mov_b32_e32 v3, v21
	v_lshlrev_b64 v[18:19], 3, v[18:19]
	v_mov_b32_e32 v17, v22
	v_add_co_ci_u32_e64 v13, s0, v49, v13, s0
	v_mov_b32_e32 v21, v24
	v_mad_u64_u32 v[24:25], null, s3, v32, v[3:4]
	v_mad_u64_u32 v[25:26], null, s2, v29, 0
	v_mad_u64_u32 v[40:41], null, s3, v37, v[21:22]
	v_mad_u64_u32 v[41:42], null, s2, v35, 0
	v_add_co_u32 v14, s0, v48, v14
	v_mov_b32_e32 v3, v26
	v_lshlrev_b64 v[16:17], 3, v[16:17]
	v_add_co_ci_u32_e64 v15, s0, v49, v15, s0
	v_add_co_u32 v18, s0, v48, v18
	v_mov_b32_e32 v21, v24
	v_mad_u64_u32 v[26:27], null, s3, v29, v[3:4]
	v_mov_b32_e32 v3, v42
	v_add_co_ci_u32_e64 v19, s0, v49, v19, s0
	v_add_co_u32 v44, s0, v48, v16
	v_mov_b32_e32 v24, v40
	v_add_co_ci_u32_e64 v45, s0, v49, v17, s0
	v_lshlrev_b64 v[16:17], 3, v[20:21]
	v_mad_u64_u32 v[20:21], null, s3, v35, v[3:4]
	v_lshlrev_b64 v[21:22], 3, v[23:24]
	v_add_co_u32 v46, s0, v48, v16
	v_add_co_ci_u32_e64 v47, s0, v49, v17, s0
	v_mov_b32_e32 v42, v20
	v_lshlrev_b64 v[16:17], 3, v[25:26]
	v_add_co_u32 v20, s0, v48, v21
	v_add_co_ci_u32_e64 v21, s0, v49, v22, s0
	v_lshlrev_b64 v[22:23], 3, v[41:42]
	v_add_co_u32 v40, s0, v48, v16
	v_add_co_ci_u32_e64 v41, s0, v49, v17, s0
	v_mov_b32_e32 v42, v33
	v_add_co_u32 v22, s0, v48, v22
	v_add_co_ci_u32_e64 v23, s0, v49, v23, s0
	s_clause 0x7
	global_load_dwordx2 v[16:17], v[12:13], off
	global_load_dwordx2 v[24:25], v[14:15], off
	;; [unrolled: 1-line block ×8, first 2 shown]
	v_mov_b32_e32 v44, v29
	v_mov_b32_e32 v45, v32
	;; [unrolled: 1-line block ×4, first 2 shown]
.LBB0_8:
	s_or_b32 exec_lo, exec_lo, s1
	s_waitcnt vmcnt(10)
	v_sub_f32_e32 v47, v1, v8
	v_mul_u32_u24_e32 v43, 0xc0, v43
	v_sub_f32_e32 v3, v2, v9
	s_waitcnt vmcnt(8)
	v_sub_f32_e32 v9, v6, v10
	v_sub_f32_e32 v11, v7, v11
	v_fma_f32 v46, v1, 2.0, -v47
	v_lshlrev_b32_e32 v1, 2, v43
	s_waitcnt vmcnt(6)
	v_sub_f32_e32 v49, v16, v24
	s_waitcnt vmcnt(4)
	v_sub_f32_e32 v51, v19, v27
	v_fma_f32 v8, v6, 2.0, -v9
	v_fma_f32 v10, v7, 2.0, -v11
	v_add_nc_u32_e32 v24, 0, v1
	v_sub_f32_e32 v7, v17, v25
	v_fma_f32 v50, v19, 2.0, -v51
	s_waitcnt vmcnt(0)
	v_sub_f32_e32 v19, v12, v22
	v_sub_f32_e32 v22, v13, v23
	v_lshl_add_u32 v23, v31, 3, v24
	v_lshl_add_u32 v27, v40, 3, v24
	v_fma_f32 v6, v17, 2.0, -v7
	v_sub_f32_e32 v17, v14, v20
	v_sub_f32_e32 v53, v15, v21
	ds_write_b64 v23, v[46:47]
	ds_write_b64 v27, v[8:9]
	v_lshlrev_b32_e32 v8, 2, v31
	v_sub_f32_e32 v26, v18, v26
	v_fma_f32 v48, v16, 2.0, -v49
	v_fma_f32 v16, v14, 2.0, -v17
	v_fma_f32 v52, v15, 2.0, -v53
	v_lshl_add_u32 v43, v41, 3, v24
	v_lshl_add_u32 v55, v45, 3, v24
	v_add3_u32 v15, 0, v8, v1
	v_lshlrev_b32_e32 v1, 2, v40
	v_fma_f32 v25, v18, 2.0, -v26
	v_fma_f32 v18, v12, 2.0, -v19
	v_lshl_add_u32 v54, v42, 3, v24
	v_lshl_add_u32 v56, v44, 3, v24
	v_lshlrev_b32_e32 v12, 2, v41
	ds_write_b64 v43, v[48:49]
	ds_write_b64 v54, v[25:26]
	;; [unrolled: 1-line block ×4, first 2 shown]
	v_sub_nc_u32_e32 v16, v27, v1
	v_lshlrev_b32_e32 v1, 2, v42
	v_lshlrev_b32_e32 v19, 2, v45
	v_fma_f32 v2, v2, 2.0, -v3
	v_add_nc_u32_e32 v14, v24, v8
	v_lshlrev_b32_e32 v20, 2, v44
	v_sub_nc_u32_e32 v17, v43, v12
	v_sub_nc_u32_e32 v18, v54, v1
	;; [unrolled: 1-line block ×3, first 2 shown]
	v_fma_f32 v21, v13, 2.0, -v22
	s_waitcnt lgkmcnt(0)
	s_barrier
	buffer_gl0_inv
	ds_read2_b32 v[8:9], v15 offset0:96 offset1:112
	ds_read2_b32 v[12:13], v15 offset0:128 offset1:144
	;; [unrolled: 1-line block ×3, first 2 shown]
	v_sub_nc_u32_e32 v20, v56, v20
	ds_read_b32 v25, v14
	ds_read_b32 v48, v16
	;; [unrolled: 1-line block ×6, first 2 shown]
	s_waitcnt lgkmcnt(0)
	s_barrier
	buffer_gl0_inv
	ds_write_b64 v23, v[2:3]
	v_and_b32_e32 v3, 1, v0
	ds_write_b64 v27, v[10:11]
	ds_write_b64 v43, v[6:7]
	;; [unrolled: 1-line block ×5, first 2 shown]
	s_waitcnt lgkmcnt(0)
	s_barrier
	v_lshlrev_b32_e32 v1, 3, v3
	buffer_gl0_inv
	v_lshlrev_b32_e32 v6, 1, v31
	v_lshlrev_b32_e32 v7, 1, v40
	;; [unrolled: 1-line block ×3, first 2 shown]
	global_load_dwordx2 v[1:2], v1, s[4:5]
	v_lshlrev_b32_e32 v11, 1, v42
	v_lshlrev_b32_e32 v21, 1, v45
	;; [unrolled: 1-line block ×3, first 2 shown]
	v_and_b32_e32 v26, 3, v0
	v_and_or_b32 v0, v6, 28, v3
	v_and_or_b32 v23, v7, 60, v3
	ds_read2_b32 v[6:7], v15 offset0:96 offset1:112
	v_and_or_b32 v27, 0x5c, v10, v3
	v_and_or_b32 v43, 0x7c, v11, v3
	ds_read2_b32 v[10:11], v15 offset0:128 offset1:144
	;; [unrolled: 3-line block ×3, first 2 shown]
	v_lshl_add_u32 v50, v23, 2, v24
	v_lshl_add_u32 v51, v27, 2, v24
	;; [unrolled: 1-line block ×3, first 2 shown]
	ds_read_b32 v23, v14
	ds_read_b32 v27, v16
	;; [unrolled: 1-line block ×6, first 2 shown]
	v_lshlrev_b32_e32 v45, 4, v26
	v_lshl_add_u32 v0, v0, 2, v24
	v_lshl_add_u32 v44, v44, 2, v24
	;; [unrolled: 1-line block ×3, first 2 shown]
	s_waitcnt vmcnt(0) lgkmcnt(0)
	s_barrier
	buffer_gl0_inv
	v_cmp_gt_u32_e64 s0, 12, v31
	v_lshrrev_b32_e32 v42, 2, v42
	v_mul_lo_u32 v42, v42, 12
	v_mul_f32_e32 v56, v6, v2
	v_mul_f32_e32 v60, v8, v2
	;; [unrolled: 1-line block ×12, first 2 shown]
	v_fmac_f32_e32 v56, v8, v1
	v_fma_f32 v6, v6, v1, -v60
	v_fmac_f32_e32 v61, v9, v1
	v_fma_f32 v7, v7, v1, -v62
	v_fmac_f32_e32 v63, v12, v1
	v_fma_f32 v8, v10, v1, -v64
	v_fmac_f32_e32 v65, v13, v1
	v_fma_f32 v9, v11, v1, -v66
	v_fmac_f32_e32 v67, v46, v1
	v_fma_f32 v10, v21, v1, -v68
	v_fmac_f32_e32 v69, v47, v1
	v_fma_f32 v1, v22, v1, -v2
	v_sub_f32_e32 v2, v25, v56
	v_sub_f32_e32 v6, v23, v6
	;; [unrolled: 1-line block ×12, first 2 shown]
	v_fma_f32 v13, v25, 2.0, -v2
	v_fma_f32 v60, v23, 2.0, -v6
	;; [unrolled: 1-line block ×12, first 2 shown]
	ds_write2_b32 v0, v13, v2 offset1:2
	ds_write2_b32 v50, v21, v11 offset1:2
	;; [unrolled: 1-line block ×6, first 2 shown]
	s_waitcnt lgkmcnt(0)
	s_barrier
	buffer_gl0_inv
	ds_read2_b32 v[10:11], v15 offset0:128 offset1:144
	ds_read_b32 v23, v14
	ds_read_b32 v22, v16
	;; [unrolled: 1-line block ×3, first 2 shown]
	ds_read2_b32 v[12:13], v15 offset0:96 offset1:112
	ds_read2_b32 v[8:9], v15 offset0:160 offset1:176
	ds_read_b32 v27, v20
	ds_read_b32 v43, v19
	;; [unrolled: 1-line block ×3, first 2 shown]
	s_waitcnt lgkmcnt(0)
	s_barrier
	buffer_gl0_inv
	ds_write2_b32 v0, v60, v6 offset1:2
	ds_write2_b32 v50, v48, v7 offset1:2
	;; [unrolled: 1-line block ×6, first 2 shown]
	s_waitcnt lgkmcnt(0)
	s_barrier
	buffer_gl0_inv
	global_load_dwordx4 v[0:3], v45, s[4:5] offset:16
	v_add_nc_u32_e32 v46, -12, v31
	v_and_b32_e32 v47, 0xff, v40
	v_lshrrev_b32_e32 v44, 2, v40
	v_lshrrev_b32_e32 v45, 2, v41
	;; [unrolled: 1-line block ×3, first 2 shown]
	v_and_b32_e32 v48, 0xff, v41
	v_cndmask_b32_e64 v54, v46, v31, s0
	v_mul_lo_u16 v46, 0xab, v47
	v_mul_lo_u32 v44, v44, 12
	v_mul_lo_u32 v45, v45, 12
	v_mul_u32_u24_e32 v6, 12, v6
	v_mul_lo_u16 v47, 0xab, v48
	v_lshrrev_b16 v53, 11, v46
	v_mov_b32_e32 v52, 3
	v_mov_b32_e32 v7, 0
	v_or_b32_e32 v48, v6, v26
	v_lshrrev_b16 v55, 11, v47
	v_or_b32_e32 v46, v44, v26
	v_or_b32_e32 v47, v45, v26
	;; [unrolled: 1-line block ×3, first 2 shown]
	v_mul_lo_u16 v42, v53, 12
	v_lshl_add_u32 v56, v48, 2, v24
	v_lshl_add_u32 v57, v46, 2, v24
	v_mul_i32_i24_e32 v6, 3, v54
	v_lshl_add_u32 v59, v26, 2, v24
	v_sub_nc_u16 v58, v40, v42
	v_lshl_add_u32 v42, v47, 2, v24
	ds_read2_b32 v[46:47], v15 offset0:128 offset1:144
	ds_read2_b32 v[48:49], v15 offset0:96 offset1:112
	ds_read_b32 v60, v19
	ds_read_b32 v61, v20
	ds_read2_b32 v[50:51], v15 offset0:160 offset1:176
	ds_read_b32 v63, v14
	ds_read_b32 v64, v16
	;; [unrolled: 1-line block ×4, first 2 shown]
	v_mul_lo_u16 v26, v58, 3
	v_lshlrev_b64 v[44:45], 3, v[6:7]
	v_mul_lo_u16 v6, v55, 12
	s_waitcnt vmcnt(0) lgkmcnt(0)
	s_barrier
	v_lshlrev_b32_sdwa v62, v52, v26 dst_sel:DWORD dst_unused:UNUSED_PAD src0_sel:DWORD src1_sel:BYTE_0
	buffer_gl0_inv
	v_sub_nc_u16 v6, v41, v6
	v_add_co_u32 v44, s0, s4, v44
	v_add_co_ci_u32_e64 v45, s0, s5, v45, s0
	v_cmp_lt_u32_e64 s0, 11, v31
	v_mul_f32_e32 v26, v46, v3
	v_mul_f32_e32 v68, v10, v3
	;; [unrolled: 1-line block ×16, first 2 shown]
	v_fmac_f32_e32 v26, v10, v2
	v_fma_f32 v10, v46, v2, -v68
	v_fmac_f32_e32 v74, v43, v0
	v_fma_f32 v43, v60, v0, -v75
	v_fmac_f32_e32 v67, v11, v2
	v_fma_f32 v11, v47, v2, -v69
	v_fmac_f32_e32 v70, v12, v0
	v_fmac_f32_e32 v71, v13, v0
	v_fma_f32 v12, v48, v0, -v72
	v_fma_f32 v13, v49, v0, -v73
	v_fmac_f32_e32 v76, v27, v0
	v_fma_f32 v0, v61, v0, -v1
	v_fmac_f32_e32 v77, v8, v2
	v_fma_f32 v1, v50, v2, -v78
	v_fmac_f32_e32 v79, v9, v2
	v_fma_f32 v2, v51, v2, -v3
	v_add_f32_e32 v8, v74, v26
	v_sub_f32_e32 v9, v43, v10
	v_add_f32_e32 v27, v63, v43
	v_add_f32_e32 v43, v43, v10
	v_add_f32_e32 v48, v76, v67
	v_sub_f32_e32 v49, v0, v11
	v_add_f32_e32 v50, v64, v0
	v_add_f32_e32 v0, v0, v11
	;; [unrolled: 4-line block ×3, first 2 shown]
	v_add_f32_e32 v73, v71, v79
	v_add_f32_e32 v3, v23, v74
	v_sub_f32_e32 v46, v74, v26
	v_sub_f32_e32 v74, v13, v2
	v_add_f32_e32 v75, v66, v13
	v_add_f32_e32 v13, v13, v2
	v_fmac_f32_e32 v23, -0.5, v8
	v_fmac_f32_e32 v63, -0.5, v43
	v_add_f32_e32 v47, v22, v76
	v_sub_f32_e32 v51, v76, v67
	v_fmac_f32_e32 v22, -0.5, v48
	v_fmac_f32_e32 v64, -0.5, v0
	v_add_f32_e32 v60, v21, v70
	v_sub_f32_e32 v70, v70, v77
	v_add_f32_e32 v72, v25, v71
	v_fmac_f32_e32 v21, -0.5, v61
	v_fmac_f32_e32 v65, -0.5, v12
	;; [unrolled: 1-line block ×3, first 2 shown]
	v_sub_f32_e32 v71, v71, v79
	v_add_f32_e32 v3, v3, v26
	v_add_f32_e32 v8, v27, v10
	v_fmac_f32_e32 v66, -0.5, v13
	v_fmamk_f32 v13, v9, 0xbf5db3d7, v23
	v_fmac_f32_e32 v23, 0x3f5db3d7, v9
	v_fmamk_f32 v9, v46, 0x3f5db3d7, v63
	v_fmac_f32_e32 v63, 0xbf5db3d7, v46
	v_add_f32_e32 v10, v47, v67
	v_add_f32_e32 v11, v50, v11
	v_fmamk_f32 v26, v49, 0xbf5db3d7, v22
	v_fmamk_f32 v27, v51, 0x3f5db3d7, v64
	v_fmac_f32_e32 v22, 0x3f5db3d7, v49
	v_fmac_f32_e32 v64, 0xbf5db3d7, v51
	v_add_f32_e32 v0, v60, v77
	v_add_f32_e32 v1, v69, v1
	;; [unrolled: 1-line block ×3, first 2 shown]
	v_fmamk_f32 v43, v68, 0xbf5db3d7, v21
	v_fmac_f32_e32 v21, 0x3f5db3d7, v68
	v_fmamk_f32 v46, v70, 0x3f5db3d7, v65
	v_fmamk_f32 v47, v74, 0xbf5db3d7, v25
	v_fmac_f32_e32 v25, 0x3f5db3d7, v74
	v_add_f32_e32 v2, v75, v2
	v_fmac_f32_e32 v65, 0xbf5db3d7, v70
	v_fmamk_f32 v48, v71, 0x3f5db3d7, v66
	v_fmac_f32_e32 v66, 0xbf5db3d7, v71
	ds_write2_b32 v56, v3, v13 offset1:4
	ds_write_b32 v56, v23 offset:32
	ds_write2_b32 v57, v10, v26 offset1:4
	ds_write_b32 v57, v22 offset:32
	;; [unrolled: 2-line block ×4, first 2 shown]
	s_waitcnt lgkmcnt(0)
	s_barrier
	buffer_gl0_inv
	ds_read2_b32 v[12:13], v15 offset0:96 offset1:112
	ds_read2_b32 v[21:22], v15 offset0:128 offset1:144
	ds_read_b32 v23, v14
	ds_read_b32 v60, v16
	ds_read2_b32 v[25:26], v15 offset0:160 offset1:176
	ds_read_b32 v61, v20
	ds_read_b32 v67, v19
	;; [unrolled: 1-line block ×4, first 2 shown]
	s_waitcnt lgkmcnt(0)
	s_barrier
	buffer_gl0_inv
	ds_write2_b32 v56, v8, v9 offset1:4
	ds_write_b32 v56, v63 offset:32
	ds_write2_b32 v57, v11, v27 offset1:4
	ds_write_b32 v57, v64 offset:32
	;; [unrolled: 2-line block ×4, first 2 shown]
	v_mul_lo_u16 v27, v6, 3
	s_waitcnt lgkmcnt(0)
	s_barrier
	buffer_gl0_inv
	s_clause 0x1
	global_load_dwordx4 v[0:3], v[44:45], off offset:80
	global_load_dwordx4 v[8:11], v62, s[4:5] offset:80
	v_lshlrev_b32_sdwa v27, v52, v27 dst_sel:DWORD dst_unused:UNUSED_PAD src0_sel:DWORD src1_sel:BYTE_0
	s_clause 0x3
	global_load_dwordx2 v[46:47], v[44:45], off offset:96
	global_load_dwordx2 v[48:49], v62, s[4:5] offset:96
	global_load_dwordx4 v[42:45], v27, s[4:5] offset:80
	global_load_dwordx2 v[50:51], v27, s[4:5] offset:96
	v_mul_lo_u16 v52, v55, 48
	v_cndmask_b32_e64 v55, 0, 48, s0
	v_mul_lo_u16 v27, v53, 48
	ds_read_b32 v59, v19
	ds_read_b32 v63, v20
	v_or_b32_e32 v6, v52, v6
	v_or_b32_e32 v56, v55, v54
	;; [unrolled: 1-line block ×3, first 2 shown]
	ds_read_b32 v58, v18
	ds_read2_b32 v[52:53], v15 offset0:96 offset1:112
	ds_read2_b32 v[54:55], v15 offset0:128 offset1:144
	v_lshl_add_u32 v62, v56, 2, v24
	ds_read2_b32 v[56:57], v15 offset0:160 offset1:176
	v_and_b32_e32 v27, 0xff, v27
	v_and_b32_e32 v6, 0xff, v6
	v_lshl_add_u32 v27, v27, 2, v24
	v_lshl_add_u32 v6, v6, 2, v24
	ds_read_b32 v24, v14
	ds_read_b32 v64, v16
	;; [unrolled: 1-line block ×3, first 2 shown]
	s_waitcnt vmcnt(0) lgkmcnt(0)
	s_barrier
	buffer_gl0_inv
	v_mul_f32_e32 v66, v58, v1
	v_mul_f32_e32 v1, v68, v1
	;; [unrolled: 1-line block ×18, first 2 shown]
	v_fmac_f32_e32 v66, v68, v0
	v_fma_f32 v0, v58, v0, -v1
	v_fmac_f32_e32 v70, v12, v2
	v_fma_f32 v1, v52, v2, -v3
	v_fmac_f32_e32 v73, v22, v46
	v_fmac_f32_e32 v71, v13, v10
	v_fma_f32 v2, v53, v10, -v11
	v_fmac_f32_e32 v72, v67, v8
	v_fma_f32 v3, v59, v8, -v9
	v_fma_f32 v8, v55, v46, -v47
	v_fmac_f32_e32 v74, v25, v48
	v_fma_f32 v9, v56, v48, -v49
	v_fmac_f32_e32 v75, v61, v42
	v_fmac_f32_e32 v76, v21, v44
	;; [unrolled: 1-line block ×3, first 2 shown]
	v_fma_f32 v10, v63, v42, -v43
	v_fma_f32 v11, v54, v44, -v45
	;; [unrolled: 1-line block ×3, first 2 shown]
	v_sub_f32_e32 v13, v23, v70
	v_sub_f32_e32 v25, v24, v1
	;; [unrolled: 1-line block ×12, first 2 shown]
	v_fma_f32 v12, v23, 2.0, -v13
	v_fma_f32 v23, v24, 2.0, -v25
	;; [unrolled: 1-line block ×4, first 2 shown]
	v_add_f32_e32 v8, v13, v8
	v_sub_f32_e32 v44, v25, v1
	v_fma_f32 v1, v60, 2.0, -v21
	v_fma_f32 v46, v72, 2.0, -v2
	;; [unrolled: 1-line block ×4, first 2 shown]
	v_add_f32_e32 v9, v21, v9
	v_sub_f32_e32 v47, v26, v2
	v_fma_f32 v2, v69, 2.0, -v22
	v_fma_f32 v49, v75, 2.0, -v43
	;; [unrolled: 1-line block ×3, first 2 shown]
	v_add_f32_e32 v10, v22, v11
	v_sub_f32_e32 v11, v12, v24
	v_sub_f32_e32 v24, v23, v0
	v_fma_f32 v0, v13, 2.0, -v8
	v_sub_f32_e32 v13, v1, v46
	v_sub_f32_e32 v46, v45, v3
	v_fma_f32 v3, v21, 2.0, -v9
	v_sub_f32_e32 v21, v2, v49
	v_fma_f32 v12, v12, 2.0, -v11
	v_fma_f32 v1, v1, 2.0, -v13
	;; [unrolled: 1-line block ×5, first 2 shown]
	ds_write2_b32 v62, v11, v8 offset0:24 offset1:36
	ds_write2_b32 v62, v12, v0 offset1:12
	ds_write2_b32 v27, v1, v3 offset1:12
	ds_write2_b32 v27, v13, v9 offset0:24 offset1:36
	ds_write2_b32 v6, v2, v22 offset1:12
	ds_write2_b32 v6, v21, v10 offset0:24 offset1:36
	s_waitcnt lgkmcnt(0)
	s_barrier
	buffer_gl0_inv
	ds_read2_b32 v[0:1], v15 offset0:96 offset1:112
	ds_read2_b32 v[8:9], v15 offset0:128 offset1:144
	ds_read_b32 v12, v14
	ds_read_b32 v10, v16
	ds_read2_b32 v[2:3], v15 offset0:160 offset1:176
	ds_read_b32 v21, v20
	ds_read_b32 v13, v19
	;; [unrolled: 1-line block ×4, first 2 shown]
	v_sub_f32_e32 v49, v48, v50
	v_sub_f32_e32 v43, v42, v43
	v_fma_f32 v23, v23, 2.0, -v24
	v_fma_f32 v25, v25, 2.0, -v44
	;; [unrolled: 1-line block ×6, first 2 shown]
	s_waitcnt lgkmcnt(0)
	s_barrier
	buffer_gl0_inv
	ds_write2_b32 v62, v23, v25 offset1:12
	ds_write2_b32 v62, v24, v44 offset0:24 offset1:36
	ds_write2_b32 v27, v45, v26 offset1:12
	ds_write2_b32 v27, v46, v47 offset0:24 offset1:36
	;; [unrolled: 2-line block ×3, first 2 shown]
	s_waitcnt lgkmcnt(0)
	s_barrier
	buffer_gl0_inv
	s_and_saveexec_b32 s0, vcc_lo
	s_cbranch_execz .LBB0_10
; %bb.9:
	v_mul_i32_i24_e32 v6, 3, v41
	v_mul_u32_u24_e32 v23, 3, v31
	v_mad_u64_u32 v[52:53], null, s2, v31, 0
	v_mad_u64_u32 v[54:55], null, s2, v33, 0
	v_lshlrev_b64 v[41:42], 3, v[6:7]
	v_mul_i32_i24_e32 v6, 3, v40
	v_lshlrev_b32_e32 v27, 3, v23
	v_mad_u64_u32 v[56:57], null, s2, v38, 0
	s_clause 0x1
	global_load_dwordx4 v[23:26], v27, s[4:5] offset:368
	global_load_dwordx2 v[48:49], v27, s[4:5] offset:384
	v_lshlrev_b64 v[6:7], 3, v[6:7]
	v_add_co_u32 v44, vcc_lo, s4, v41
	v_add_co_ci_u32_e32 v45, vcc_lo, s5, v42, vcc_lo
	s_clause 0x1
	global_load_dwordx4 v[40:43], v[44:45], off offset:368
	global_load_dwordx2 v[50:51], v[44:45], off offset:384
	v_add_co_u32 v6, vcc_lo, s4, v6
	v_add_co_ci_u32_e32 v7, vcc_lo, s5, v7, vcc_lo
	s_clause 0x1
	global_load_dwordx4 v[44:47], v[6:7], off offset:368
	global_load_dwordx2 v[6:7], v[6:7], off offset:384
	v_mad_u64_u32 v[58:59], null, s2, v39, 0
	v_mad_u64_u32 v[60:61], null, s2, v30, 0
	;; [unrolled: 1-line block ×5, first 2 shown]
	v_mov_b32_e32 v27, v53
	v_mov_b32_e32 v53, v55
	v_mad_u64_u32 v[64:65], null, s2, v37, 0
	v_mov_b32_e32 v55, v57
	v_mov_b32_e32 v57, v59
	;; [unrolled: 1-line block ×4, first 2 shown]
	v_add_co_u32 v84, vcc_lo, s6, v4
	v_mad_u64_u32 v[76:77], null, s3, v31, v[27:28]
	v_mad_u64_u32 v[77:78], null, s3, v33, v[53:54]
	v_add_co_ci_u32_e32 v85, vcc_lo, s7, v5, vcc_lo
	v_mad_u64_u32 v[4:5], null, s2, v36, 0
	v_mad_u64_u32 v[78:79], null, s3, v38, v[55:56]
	;; [unrolled: 1-line block ×4, first 2 shown]
	v_mov_b32_e32 v31, v67
	v_mad_u64_u32 v[79:80], null, s3, v30, v[59:60]
	v_mov_b32_e32 v30, v69
	v_mad_u64_u32 v[70:71], null, s2, v34, 0
	v_mov_b32_e32 v27, v65
	ds_read2_b32 v[74:75], v15 offset0:128 offset1:144
	v_mad_u64_u32 v[29:30], null, s3, v29, v[30:31]
	v_mad_u64_u32 v[38:39], null, s3, v39, v[57:58]
	v_mov_b32_e32 v53, v76
	v_mov_b32_e32 v61, v79
	v_mov_b32_e32 v55, v77
	v_mov_b32_e32 v57, v78
	v_mov_b32_e32 v69, v29
	v_mov_b32_e32 v63, v32
	v_mov_b32_e32 v59, v38
	s_waitcnt vmcnt(0)
	v_mad_u64_u32 v[80:81], null, s3, v36, v[5:6]
	v_mad_u64_u32 v[36:37], null, s3, v37, v[27:28]
	;; [unrolled: 1-line block ×3, first 2 shown]
	v_mov_b32_e32 v28, v73
	v_mov_b32_e32 v5, v71
	;; [unrolled: 1-line block ×3, first 2 shown]
	v_mad_u64_u32 v[81:82], null, s3, v35, v[28:29]
	v_mad_u64_u32 v[30:31], null, s3, v34, v[5:6]
	ds_read2_b32 v[33:34], v15 offset0:160 offset1:176
	ds_read2_b32 v[82:83], v15 offset0:96 offset1:112
	ds_read_b32 v20, v20
	ds_read_b32 v39, v19
	;; [unrolled: 1-line block ×6, first 2 shown]
	v_lshlrev_b64 v[14:15], 3, v[52:53]
	v_mov_b32_e32 v67, v27
	v_lshlrev_b64 v[27:28], 3, v[58:59]
	v_mul_f32_e32 v58, v0, v26
	v_mov_b32_e32 v71, v30
	v_lshlrev_b64 v[29:30], 3, v[60:61]
	v_mul_f32_e32 v59, v22, v23
	v_mul_f32_e32 v60, v9, v48
	;; [unrolled: 1-line block ×4, first 2 shown]
	v_lshlrev_b64 v[16:17], 3, v[54:55]
	v_lshlrev_b64 v[18:19], 3, v[56:57]
	v_add_co_u32 v14, vcc_lo, v84, v14
	s_waitcnt lgkmcnt(6)
	v_mul_f32_e32 v26, v82, v26
	v_fma_f32 v58, v82, v25, -v58
	s_waitcnt lgkmcnt(3)
	v_fmac_f32_e32 v59, v86, v24
	v_fmac_f32_e32 v60, v75, v49
	v_fma_f32 v9, v75, v48, -v9
	v_fmac_f32_e32 v26, v0, v25
	v_fma_f32 v0, v86, v23, -v22
	v_mul_f32_e32 v22, v8, v43
	v_mul_f32_e32 v23, v21, v40
	;; [unrolled: 1-line block ×6, first 2 shown]
	v_add_co_ci_u32_e32 v15, vcc_lo, v85, v15, vcc_lo
	v_add_co_u32 v16, vcc_lo, v84, v16
	v_add_co_ci_u32_e32 v17, vcc_lo, v85, v17, vcc_lo
	s_waitcnt lgkmcnt(0)
	v_sub_f32_e32 v43, v89, v58
	v_sub_f32_e32 v48, v59, v60
	;; [unrolled: 1-line block ×4, first 2 shown]
	v_fma_f32 v22, v74, v42, -v22
	v_fmac_f32_e32 v23, v20, v41
	v_fmac_f32_e32 v24, v34, v51
	;; [unrolled: 1-line block ×3, first 2 shown]
	v_fma_f32 v20, v20, v40, -v21
	v_fma_f32 v8, v34, v50, -v3
	v_mul_f32_e32 v21, v1, v47
	v_mul_f32_e32 v34, v13, v44
	;; [unrolled: 1-line block ×6, first 2 shown]
	v_add_co_u32 v18, vcc_lo, v84, v18
	v_mov_b32_e32 v5, v80
	v_add_co_ci_u32_e32 v19, vcc_lo, v85, v19, vcc_lo
	v_lshlrev_b64 v[31:32], 3, v[62:63]
	v_add_co_u32 v27, vcc_lo, v84, v27
	v_sub_f32_e32 v3, v43, v48
	v_add_f32_e32 v2, v26, v9
	v_fma_f32 v47, v89, 2.0, -v43
	v_fma_f32 v9, v0, 2.0, -v9
	;; [unrolled: 1-line block ×4, first 2 shown]
	v_sub_f32_e32 v22, v87, v22
	v_sub_f32_e32 v48, v20, v8
	v_fma_f32 v21, v83, v46, -v21
	v_fmac_f32_e32 v34, v39, v45
	v_fmac_f32_e32 v40, v33, v7
	;; [unrolled: 1-line block ×3, first 2 shown]
	v_fma_f32 v13, v39, v44, -v13
	v_fma_f32 v33, v33, v6, -v42
	v_add_co_ci_u32_e32 v28, vcc_lo, v85, v28, vcc_lo
	v_lshlrev_b64 v[4:5], 3, v[4:5]
	v_add_co_u32 v29, vcc_lo, v84, v29
	v_add_co_ci_u32_e32 v30, vcc_lo, v85, v30, vcc_lo
	v_lshlrev_b64 v[35:36], 3, v[64:65]
	v_add_co_u32 v31, vcc_lo, v84, v31
	v_sub_f32_e32 v24, v23, v24
	v_sub_f32_e32 v25, v11, v25
	v_fma_f32 v1, v43, 2.0, -v3
	v_fma_f32 v0, v26, 2.0, -v2
	v_sub_f32_e32 v7, v47, v9
	v_sub_f32_e32 v6, v49, v12
	v_fma_f32 v26, v87, 2.0, -v22
	v_fma_f32 v39, v20, 2.0, -v48
	v_sub_f32_e32 v43, v88, v21
	v_sub_f32_e32 v40, v34, v40
	;; [unrolled: 1-line block ×4, first 2 shown]
	v_add_co_ci_u32_e32 v32, vcc_lo, v85, v32, vcc_lo
	v_lshlrev_b64 v[37:38], 3, v[66:67]
	v_add_co_u32 v4, vcc_lo, v84, v4
	v_add_co_ci_u32_e32 v5, vcc_lo, v85, v5, vcc_lo
	v_sub_f32_e32 v9, v22, v24
	v_fma_f32 v42, v11, 2.0, -v25
	v_fma_f32 v24, v23, 2.0, -v24
	;; [unrolled: 1-line block ×4, first 2 shown]
	v_sub_f32_e32 v23, v26, v39
	v_fma_f32 v39, v88, 2.0, -v43
	v_fma_f32 v13, v13, 2.0, -v33
	;; [unrolled: 1-line block ×4, first 2 shown]
	v_lshlrev_b64 v[52:53], 3, v[68:69]
	v_add_co_u32 v35, vcc_lo, v84, v35
	v_add_f32_e32 v8, v25, v48
	v_mov_b32_e32 v73, v81
	v_add_co_ci_u32_e32 v36, vcc_lo, v85, v36, vcc_lo
	v_lshlrev_b64 v[54:55], 3, v[70:71]
	v_add_co_u32 v37, vcc_lo, v84, v37
	global_store_dwordx2 v[14:15], v[11:12], off
	v_sub_f32_e32 v11, v39, v13
	v_sub_f32_e32 v10, v44, v10
	v_add_co_ci_u32_e32 v38, vcc_lo, v85, v38, vcc_lo
	v_fma_f32 v21, v22, 2.0, -v9
	v_fma_f32 v20, v25, 2.0, -v8
	v_sub_f32_e32 v22, v42, v24
	v_sub_f32_e32 v25, v43, v40
	v_add_f32_e32 v24, v41, v33
	v_lshlrev_b64 v[56:57], 3, v[72:73]
	v_add_co_u32 v52, vcc_lo, v84, v52
	v_add_co_ci_u32_e32 v53, vcc_lo, v85, v53, vcc_lo
	v_add_co_u32 v54, vcc_lo, v84, v54
	global_store_dwordx2 v[16:17], v[0:1], off
	global_store_dwordx2 v[18:19], v[6:7], off
	v_fma_f32 v7, v39, 2.0, -v11
	v_fma_f32 v6, v44, 2.0, -v10
	;; [unrolled: 1-line block ×4, first 2 shown]
	v_add_co_ci_u32_e32 v55, vcc_lo, v85, v55, vcc_lo
	v_add_co_u32 v56, vcc_lo, v84, v56
	global_store_dwordx2 v[27:28], v[2:3], off
	v_fma_f32 v3, v26, 2.0, -v23
	v_fma_f32 v2, v42, 2.0, -v22
	v_add_co_ci_u32_e32 v57, vcc_lo, v85, v57, vcc_lo
	global_store_dwordx2 v[29:30], v[6:7], off
	global_store_dwordx2 v[31:32], v[0:1], off
	;; [unrolled: 1-line block ×8, first 2 shown]
.LBB0_10:
	s_endpgm
	.section	.rodata,"a",@progbits
	.p2align	6, 0x0
	.amdhsa_kernel fft_rtc_back_len192_factors_2_2_3_4_4_wgs_256_tpt_16_halfLds_dim3_sp_ip_CI_sbrr_dirReg
		.amdhsa_group_segment_fixed_size 0
		.amdhsa_private_segment_fixed_size 0
		.amdhsa_kernarg_size 80
		.amdhsa_user_sgpr_count 6
		.amdhsa_user_sgpr_private_segment_buffer 1
		.amdhsa_user_sgpr_dispatch_ptr 0
		.amdhsa_user_sgpr_queue_ptr 0
		.amdhsa_user_sgpr_kernarg_segment_ptr 1
		.amdhsa_user_sgpr_dispatch_id 0
		.amdhsa_user_sgpr_flat_scratch_init 0
		.amdhsa_user_sgpr_private_segment_size 0
		.amdhsa_wavefront_size32 1
		.amdhsa_uses_dynamic_stack 0
		.amdhsa_system_sgpr_private_segment_wavefront_offset 0
		.amdhsa_system_sgpr_workgroup_id_x 1
		.amdhsa_system_sgpr_workgroup_id_y 0
		.amdhsa_system_sgpr_workgroup_id_z 0
		.amdhsa_system_sgpr_workgroup_info 0
		.amdhsa_system_vgpr_workitem_id 0
		.amdhsa_next_free_vgpr 90
		.amdhsa_next_free_sgpr 12
		.amdhsa_reserve_vcc 1
		.amdhsa_reserve_flat_scratch 0
		.amdhsa_float_round_mode_32 0
		.amdhsa_float_round_mode_16_64 0
		.amdhsa_float_denorm_mode_32 3
		.amdhsa_float_denorm_mode_16_64 3
		.amdhsa_dx10_clamp 1
		.amdhsa_ieee_mode 1
		.amdhsa_fp16_overflow 0
		.amdhsa_workgroup_processor_mode 1
		.amdhsa_memory_ordered 1
		.amdhsa_forward_progress 0
		.amdhsa_shared_vgpr_count 0
		.amdhsa_exception_fp_ieee_invalid_op 0
		.amdhsa_exception_fp_denorm_src 0
		.amdhsa_exception_fp_ieee_div_zero 0
		.amdhsa_exception_fp_ieee_overflow 0
		.amdhsa_exception_fp_ieee_underflow 0
		.amdhsa_exception_fp_ieee_inexact 0
		.amdhsa_exception_int_div_zero 0
	.end_amdhsa_kernel
	.text
.Lfunc_end0:
	.size	fft_rtc_back_len192_factors_2_2_3_4_4_wgs_256_tpt_16_halfLds_dim3_sp_ip_CI_sbrr_dirReg, .Lfunc_end0-fft_rtc_back_len192_factors_2_2_3_4_4_wgs_256_tpt_16_halfLds_dim3_sp_ip_CI_sbrr_dirReg
                                        ; -- End function
	.section	.AMDGPU.csdata,"",@progbits
; Kernel info:
; codeLenInByte = 5936
; NumSgprs: 14
; NumVgprs: 90
; ScratchSize: 0
; MemoryBound: 0
; FloatMode: 240
; IeeeMode: 1
; LDSByteSize: 0 bytes/workgroup (compile time only)
; SGPRBlocks: 1
; VGPRBlocks: 11
; NumSGPRsForWavesPerEU: 14
; NumVGPRsForWavesPerEU: 90
; Occupancy: 10
; WaveLimiterHint : 1
; COMPUTE_PGM_RSRC2:SCRATCH_EN: 0
; COMPUTE_PGM_RSRC2:USER_SGPR: 6
; COMPUTE_PGM_RSRC2:TRAP_HANDLER: 0
; COMPUTE_PGM_RSRC2:TGID_X_EN: 1
; COMPUTE_PGM_RSRC2:TGID_Y_EN: 0
; COMPUTE_PGM_RSRC2:TGID_Z_EN: 0
; COMPUTE_PGM_RSRC2:TIDIG_COMP_CNT: 0
	.text
	.p2alignl 6, 3214868480
	.fill 48, 4, 3214868480
	.type	__hip_cuid_f93eba8d48cfb498,@object ; @__hip_cuid_f93eba8d48cfb498
	.section	.bss,"aw",@nobits
	.globl	__hip_cuid_f93eba8d48cfb498
__hip_cuid_f93eba8d48cfb498:
	.byte	0                               ; 0x0
	.size	__hip_cuid_f93eba8d48cfb498, 1

	.ident	"AMD clang version 19.0.0git (https://github.com/RadeonOpenCompute/llvm-project roc-6.4.0 25133 c7fe45cf4b819c5991fe208aaa96edf142730f1d)"
	.section	".note.GNU-stack","",@progbits
	.addrsig
	.addrsig_sym __hip_cuid_f93eba8d48cfb498
	.amdgpu_metadata
---
amdhsa.kernels:
  - .args:
      - .actual_access:  read_only
        .address_space:  global
        .offset:         0
        .size:           8
        .value_kind:     global_buffer
      - .actual_access:  read_only
        .address_space:  global
        .offset:         8
        .size:           8
        .value_kind:     global_buffer
      - .actual_access:  read_only
        .address_space:  global
        .offset:         16
        .size:           8
        .value_kind:     global_buffer
      - .offset:         24
        .size:           8
        .value_kind:     by_value
      - .actual_access:  read_only
        .address_space:  global
        .offset:         32
        .size:           8
        .value_kind:     global_buffer
      - .actual_access:  read_only
        .address_space:  global
        .offset:         40
        .size:           8
        .value_kind:     global_buffer
      - .offset:         48
        .size:           4
        .value_kind:     by_value
      - .actual_access:  read_only
        .address_space:  global
        .offset:         56
        .size:           8
        .value_kind:     global_buffer
      - .actual_access:  read_only
        .address_space:  global
        .offset:         64
        .size:           8
        .value_kind:     global_buffer
      - .address_space:  global
        .offset:         72
        .size:           8
        .value_kind:     global_buffer
    .group_segment_fixed_size: 0
    .kernarg_segment_align: 8
    .kernarg_segment_size: 80
    .language:       OpenCL C
    .language_version:
      - 2
      - 0
    .max_flat_workgroup_size: 256
    .name:           fft_rtc_back_len192_factors_2_2_3_4_4_wgs_256_tpt_16_halfLds_dim3_sp_ip_CI_sbrr_dirReg
    .private_segment_fixed_size: 0
    .sgpr_count:     14
    .sgpr_spill_count: 0
    .symbol:         fft_rtc_back_len192_factors_2_2_3_4_4_wgs_256_tpt_16_halfLds_dim3_sp_ip_CI_sbrr_dirReg.kd
    .uniform_work_group_size: 1
    .uses_dynamic_stack: false
    .vgpr_count:     90
    .vgpr_spill_count: 0
    .wavefront_size: 32
    .workgroup_processor_mode: 1
amdhsa.target:   amdgcn-amd-amdhsa--gfx1030
amdhsa.version:
  - 1
  - 2
...

	.end_amdgpu_metadata
